;; amdgpu-corpus repo=ROCm/rocFFT kind=compiled arch=gfx906 opt=O3
	.text
	.amdgcn_target "amdgcn-amd-amdhsa--gfx906"
	.amdhsa_code_object_version 6
	.protected	fft_rtc_fwd_len1750_factors_2_5_5_7_5_wgs_175_tpt_175_halfLds_sp_op_CI_CI_unitstride_sbrr_R2C_dirReg ; -- Begin function fft_rtc_fwd_len1750_factors_2_5_5_7_5_wgs_175_tpt_175_halfLds_sp_op_CI_CI_unitstride_sbrr_R2C_dirReg
	.globl	fft_rtc_fwd_len1750_factors_2_5_5_7_5_wgs_175_tpt_175_halfLds_sp_op_CI_CI_unitstride_sbrr_R2C_dirReg
	.p2align	8
	.type	fft_rtc_fwd_len1750_factors_2_5_5_7_5_wgs_175_tpt_175_halfLds_sp_op_CI_CI_unitstride_sbrr_R2C_dirReg,@function
fft_rtc_fwd_len1750_factors_2_5_5_7_5_wgs_175_tpt_175_halfLds_sp_op_CI_CI_unitstride_sbrr_R2C_dirReg: ; @fft_rtc_fwd_len1750_factors_2_5_5_7_5_wgs_175_tpt_175_halfLds_sp_op_CI_CI_unitstride_sbrr_R2C_dirReg
; %bb.0:
	s_load_dwordx4 s[8:11], s[4:5], 0x58
	s_load_dwordx4 s[12:15], s[4:5], 0x0
	;; [unrolled: 1-line block ×3, first 2 shown]
	v_mul_u32_u24_e32 v1, 0x177, v0
	v_add_u32_sdwa v5, s6, v1 dst_sel:DWORD dst_unused:UNUSED_PAD src0_sel:DWORD src1_sel:WORD_1
	v_mov_b32_e32 v3, 0
	s_waitcnt lgkmcnt(0)
	v_cmp_lt_u64_e64 s[0:1], s[14:15], 2
	v_mov_b32_e32 v1, 0
	v_mov_b32_e32 v6, v3
	s_and_b64 vcc, exec, s[0:1]
	v_mov_b32_e32 v2, 0
	s_cbranch_vccnz .LBB0_8
; %bb.1:
	s_load_dwordx2 s[0:1], s[4:5], 0x10
	s_add_u32 s2, s18, 8
	s_addc_u32 s3, s19, 0
	s_add_u32 s6, s16, 8
	v_mov_b32_e32 v1, 0
	s_addc_u32 s7, s17, 0
	v_mov_b32_e32 v2, 0
	s_waitcnt lgkmcnt(0)
	s_add_u32 s20, s0, 8
	v_mov_b32_e32 v21, v2
	s_addc_u32 s21, s1, 0
	s_mov_b64 s[22:23], 1
	v_mov_b32_e32 v20, v1
.LBB0_2:                                ; =>This Inner Loop Header: Depth=1
	s_load_dwordx2 s[24:25], s[20:21], 0x0
                                        ; implicit-def: $vgpr22_vgpr23
	s_waitcnt lgkmcnt(0)
	v_or_b32_e32 v4, s25, v6
	v_cmp_ne_u64_e32 vcc, 0, v[3:4]
	s_and_saveexec_b64 s[0:1], vcc
	s_xor_b64 s[26:27], exec, s[0:1]
	s_cbranch_execz .LBB0_4
; %bb.3:                                ;   in Loop: Header=BB0_2 Depth=1
	v_cvt_f32_u32_e32 v4, s24
	v_cvt_f32_u32_e32 v7, s25
	s_sub_u32 s0, 0, s24
	s_subb_u32 s1, 0, s25
	v_mac_f32_e32 v4, 0x4f800000, v7
	v_rcp_f32_e32 v4, v4
	v_mul_f32_e32 v4, 0x5f7ffffc, v4
	v_mul_f32_e32 v7, 0x2f800000, v4
	v_trunc_f32_e32 v7, v7
	v_mac_f32_e32 v4, 0xcf800000, v7
	v_cvt_u32_f32_e32 v7, v7
	v_cvt_u32_f32_e32 v4, v4
	v_mul_lo_u32 v8, s0, v7
	v_mul_hi_u32 v9, s0, v4
	v_mul_lo_u32 v11, s1, v4
	v_mul_lo_u32 v10, s0, v4
	v_add_u32_e32 v8, v9, v8
	v_add_u32_e32 v8, v8, v11
	v_mul_hi_u32 v9, v4, v10
	v_mul_lo_u32 v11, v4, v8
	v_mul_hi_u32 v13, v4, v8
	v_mul_hi_u32 v12, v7, v10
	v_mul_lo_u32 v10, v7, v10
	v_mul_hi_u32 v14, v7, v8
	v_add_co_u32_e32 v9, vcc, v9, v11
	v_addc_co_u32_e32 v11, vcc, 0, v13, vcc
	v_mul_lo_u32 v8, v7, v8
	v_add_co_u32_e32 v9, vcc, v9, v10
	v_addc_co_u32_e32 v9, vcc, v11, v12, vcc
	v_addc_co_u32_e32 v10, vcc, 0, v14, vcc
	v_add_co_u32_e32 v8, vcc, v9, v8
	v_addc_co_u32_e32 v9, vcc, 0, v10, vcc
	v_add_co_u32_e32 v4, vcc, v4, v8
	v_addc_co_u32_e32 v7, vcc, v7, v9, vcc
	v_mul_lo_u32 v8, s0, v7
	v_mul_hi_u32 v9, s0, v4
	v_mul_lo_u32 v10, s1, v4
	v_mul_lo_u32 v11, s0, v4
	v_add_u32_e32 v8, v9, v8
	v_add_u32_e32 v8, v8, v10
	v_mul_lo_u32 v12, v4, v8
	v_mul_hi_u32 v13, v4, v11
	v_mul_hi_u32 v14, v4, v8
	v_mul_hi_u32 v10, v7, v11
	v_mul_lo_u32 v11, v7, v11
	v_mul_hi_u32 v9, v7, v8
	v_add_co_u32_e32 v12, vcc, v13, v12
	v_addc_co_u32_e32 v13, vcc, 0, v14, vcc
	v_mul_lo_u32 v8, v7, v8
	v_add_co_u32_e32 v11, vcc, v12, v11
	v_addc_co_u32_e32 v10, vcc, v13, v10, vcc
	v_addc_co_u32_e32 v9, vcc, 0, v9, vcc
	v_add_co_u32_e32 v8, vcc, v10, v8
	v_addc_co_u32_e32 v9, vcc, 0, v9, vcc
	v_add_co_u32_e32 v4, vcc, v4, v8
	v_addc_co_u32_e32 v9, vcc, v7, v9, vcc
	v_mad_u64_u32 v[7:8], s[0:1], v5, v9, 0
	v_mul_hi_u32 v10, v5, v4
	v_add_co_u32_e32 v11, vcc, v10, v7
	v_addc_co_u32_e32 v12, vcc, 0, v8, vcc
	v_mad_u64_u32 v[7:8], s[0:1], v6, v4, 0
	v_mad_u64_u32 v[9:10], s[0:1], v6, v9, 0
	v_add_co_u32_e32 v4, vcc, v11, v7
	v_addc_co_u32_e32 v4, vcc, v12, v8, vcc
	v_addc_co_u32_e32 v7, vcc, 0, v10, vcc
	v_add_co_u32_e32 v4, vcc, v4, v9
	v_addc_co_u32_e32 v9, vcc, 0, v7, vcc
	v_mul_lo_u32 v10, s25, v4
	v_mul_lo_u32 v11, s24, v9
	v_mad_u64_u32 v[7:8], s[0:1], s24, v4, 0
	v_add3_u32 v8, v8, v11, v10
	v_sub_u32_e32 v10, v6, v8
	v_mov_b32_e32 v11, s25
	v_sub_co_u32_e32 v7, vcc, v5, v7
	v_subb_co_u32_e64 v10, s[0:1], v10, v11, vcc
	v_subrev_co_u32_e64 v11, s[0:1], s24, v7
	v_subbrev_co_u32_e64 v10, s[0:1], 0, v10, s[0:1]
	v_cmp_le_u32_e64 s[0:1], s25, v10
	v_cndmask_b32_e64 v12, 0, -1, s[0:1]
	v_cmp_le_u32_e64 s[0:1], s24, v11
	v_cndmask_b32_e64 v11, 0, -1, s[0:1]
	v_cmp_eq_u32_e64 s[0:1], s25, v10
	v_cndmask_b32_e64 v10, v12, v11, s[0:1]
	v_add_co_u32_e64 v11, s[0:1], 2, v4
	v_addc_co_u32_e64 v12, s[0:1], 0, v9, s[0:1]
	v_add_co_u32_e64 v13, s[0:1], 1, v4
	v_addc_co_u32_e64 v14, s[0:1], 0, v9, s[0:1]
	v_subb_co_u32_e32 v8, vcc, v6, v8, vcc
	v_cmp_ne_u32_e64 s[0:1], 0, v10
	v_cmp_le_u32_e32 vcc, s25, v8
	v_cndmask_b32_e64 v10, v14, v12, s[0:1]
	v_cndmask_b32_e64 v12, 0, -1, vcc
	v_cmp_le_u32_e32 vcc, s24, v7
	v_cndmask_b32_e64 v7, 0, -1, vcc
	v_cmp_eq_u32_e32 vcc, s25, v8
	v_cndmask_b32_e32 v7, v12, v7, vcc
	v_cmp_ne_u32_e32 vcc, 0, v7
	v_cndmask_b32_e64 v7, v13, v11, s[0:1]
	v_cndmask_b32_e32 v23, v9, v10, vcc
	v_cndmask_b32_e32 v22, v4, v7, vcc
.LBB0_4:                                ;   in Loop: Header=BB0_2 Depth=1
	s_andn2_saveexec_b64 s[0:1], s[26:27]
	s_cbranch_execz .LBB0_6
; %bb.5:                                ;   in Loop: Header=BB0_2 Depth=1
	v_cvt_f32_u32_e32 v4, s24
	s_sub_i32 s26, 0, s24
	v_mov_b32_e32 v23, v3
	v_rcp_iflag_f32_e32 v4, v4
	v_mul_f32_e32 v4, 0x4f7ffffe, v4
	v_cvt_u32_f32_e32 v4, v4
	v_mul_lo_u32 v7, s26, v4
	v_mul_hi_u32 v7, v4, v7
	v_add_u32_e32 v4, v4, v7
	v_mul_hi_u32 v4, v5, v4
	v_mul_lo_u32 v7, v4, s24
	v_add_u32_e32 v8, 1, v4
	v_sub_u32_e32 v7, v5, v7
	v_subrev_u32_e32 v9, s24, v7
	v_cmp_le_u32_e32 vcc, s24, v7
	v_cndmask_b32_e32 v7, v7, v9, vcc
	v_cndmask_b32_e32 v4, v4, v8, vcc
	v_add_u32_e32 v8, 1, v4
	v_cmp_le_u32_e32 vcc, s24, v7
	v_cndmask_b32_e32 v22, v4, v8, vcc
.LBB0_6:                                ;   in Loop: Header=BB0_2 Depth=1
	s_or_b64 exec, exec, s[0:1]
	v_mul_lo_u32 v4, v23, s24
	v_mul_lo_u32 v9, v22, s25
	v_mad_u64_u32 v[7:8], s[0:1], v22, s24, 0
	s_load_dwordx2 s[0:1], s[6:7], 0x0
	s_load_dwordx2 s[24:25], s[2:3], 0x0
	v_add3_u32 v4, v8, v9, v4
	v_sub_co_u32_e32 v5, vcc, v5, v7
	v_subb_co_u32_e32 v4, vcc, v6, v4, vcc
	s_waitcnt lgkmcnt(0)
	v_mul_lo_u32 v6, s0, v4
	v_mul_lo_u32 v7, s1, v5
	v_mad_u64_u32 v[1:2], s[0:1], s0, v5, v[1:2]
	v_mul_lo_u32 v4, s24, v4
	v_mul_lo_u32 v8, s25, v5
	v_mad_u64_u32 v[20:21], s[0:1], s24, v5, v[20:21]
	s_add_u32 s22, s22, 1
	s_addc_u32 s23, s23, 0
	s_add_u32 s2, s2, 8
	v_add3_u32 v21, v8, v21, v4
	s_addc_u32 s3, s3, 0
	v_mov_b32_e32 v4, s14
	s_add_u32 s6, s6, 8
	v_mov_b32_e32 v5, s15
	s_addc_u32 s7, s7, 0
	v_cmp_ge_u64_e32 vcc, s[22:23], v[4:5]
	s_add_u32 s20, s20, 8
	v_add3_u32 v2, v7, v2, v6
	s_addc_u32 s21, s21, 0
	s_cbranch_vccnz .LBB0_9
; %bb.7:                                ;   in Loop: Header=BB0_2 Depth=1
	v_mov_b32_e32 v5, v22
	v_mov_b32_e32 v6, v23
	s_branch .LBB0_2
.LBB0_8:
	v_mov_b32_e32 v21, v2
	v_mov_b32_e32 v23, v6
	;; [unrolled: 1-line block ×4, first 2 shown]
.LBB0_9:
	s_load_dwordx2 s[4:5], s[4:5], 0x28
	s_lshl_b64 s[6:7], s[14:15], 3
	s_add_u32 s2, s18, s6
	s_addc_u32 s3, s19, s7
                                        ; implicit-def: $vgpr24
                                        ; implicit-def: $vgpr26
                                        ; implicit-def: $vgpr29
                                        ; implicit-def: $vgpr28
	s_waitcnt lgkmcnt(0)
	v_cmp_gt_u64_e64 s[0:1], s[4:5], v[22:23]
	v_cmp_le_u64_e32 vcc, s[4:5], v[22:23]
	s_and_saveexec_b64 s[4:5], vcc
	s_xor_b64 s[4:5], exec, s[4:5]
; %bb.10:
	s_mov_b32 s14, 0x1767dcf
	v_mul_hi_u32 v1, v0, s14
	v_mul_u32_u24_e32 v1, 0xaf, v1
	v_sub_u32_e32 v24, v0, v1
	v_add_u32_e32 v26, 0xaf, v24
	v_add_u32_e32 v29, 0x15e, v24
	;; [unrolled: 1-line block ×3, first 2 shown]
                                        ; implicit-def: $vgpr0
                                        ; implicit-def: $vgpr1_vgpr2
; %bb.11:
	s_andn2_saveexec_b64 s[4:5], s[4:5]
	s_cbranch_execz .LBB0_13
; %bb.12:
	s_add_u32 s6, s16, s6
	s_addc_u32 s7, s17, s7
	s_load_dwordx2 s[6:7], s[6:7], 0x0
	s_mov_b32 s14, 0x1767dcf
	v_mul_hi_u32 v5, v0, s14
	s_waitcnt lgkmcnt(0)
	v_mul_lo_u32 v6, s7, v22
	v_mul_lo_u32 v7, s6, v23
	v_mad_u64_u32 v[3:4], s[6:7], s6, v22, 0
	v_mul_u32_u24_e32 v5, 0xaf, v5
	v_sub_u32_e32 v24, v0, v5
	v_add3_u32 v4, v4, v7, v6
	v_lshlrev_b64 v[3:4], 3, v[3:4]
	v_mov_b32_e32 v0, s9
	v_add_co_u32_e32 v3, vcc, s8, v3
	v_addc_co_u32_e32 v4, vcc, v0, v4, vcc
	v_lshlrev_b64 v[0:1], 3, v[1:2]
	v_lshlrev_b32_e32 v25, 3, v24
	v_add_co_u32_e32 v0, vcc, v3, v0
	v_addc_co_u32_e32 v1, vcc, v4, v1, vcc
	v_add_co_u32_e32 v0, vcc, v0, v25
	v_addc_co_u32_e32 v1, vcc, 0, v1, vcc
	s_movk_i32 s6, 0x1000
	v_add_co_u32_e32 v2, vcc, s6, v0
	v_addc_co_u32_e32 v3, vcc, 0, v1, vcc
	v_add_co_u32_e32 v12, vcc, 0x2000, v0
	v_addc_co_u32_e32 v13, vcc, 0, v1, vcc
	global_load_dwordx2 v[4:5], v[0:1], off
	global_load_dwordx2 v[6:7], v[0:1], off offset:1400
	global_load_dwordx2 v[8:9], v[0:1], off offset:2800
	;; [unrolled: 1-line block ×3, first 2 shown]
	v_add_co_u32_e32 v0, vcc, 0x3000, v0
	global_load_dwordx2 v[14:15], v[2:3], off offset:1504
	global_load_dwordx2 v[16:17], v[2:3], off offset:2904
	;; [unrolled: 1-line block ×4, first 2 shown]
	v_addc_co_u32_e32 v1, vcc, 0, v1, vcc
	global_load_dwordx2 v[2:3], v[12:13], off offset:3008
	global_load_dwordx2 v[32:33], v[0:1], off offset:312
	v_add_u32_e32 v0, 0, v25
	v_add_u32_e32 v26, 0xaf, v24
	;; [unrolled: 1-line block ×7, first 2 shown]
	s_waitcnt vmcnt(8)
	ds_write2_b64 v0, v[4:5], v[6:7] offset1:175
	s_waitcnt vmcnt(6)
	ds_write2_b64 v1, v[8:9], v[10:11] offset0:30 offset1:205
	s_waitcnt vmcnt(4)
	ds_write2_b64 v12, v[14:15], v[16:17] offset0:60 offset1:235
	;; [unrolled: 2-line block ×3, first 2 shown]
	v_add_u32_e32 v0, 0x2a00, v0
	s_waitcnt vmcnt(0)
	ds_write2_b64 v0, v[2:3], v[32:33] offset0:56 offset1:231
.LBB0_13:
	s_or_b64 exec, exec, s[4:5]
	v_lshlrev_b32_e32 v25, 3, v24
	v_add_u32_e32 v38, 0, v25
	v_add_u32_e32 v0, 0x1400, v38
	s_load_dwordx2 s[2:3], s[2:3], 0x0
	s_waitcnt lgkmcnt(0)
	s_barrier
	ds_read2_b64 v[1:4], v38 offset1:175
	ds_read2_b64 v[5:8], v0 offset0:60 offset1:235
	v_add_u32_e32 v9, 0x2000, v38
	ds_read2_b64 v[9:12], v9 offset0:26 offset1:201
	v_lshl_add_u32 v27, v29, 4, 0
	v_lshl_add_u32 v39, v28, 4, 0
	s_waitcnt lgkmcnt(1)
	v_sub_f32_e32 v13, v1, v7
	v_fma_f32 v15, v1, 2.0, -v13
	v_add_u32_e32 v1, 0xa00, v38
	v_sub_f32_e32 v14, v2, v8
	s_waitcnt lgkmcnt(0)
	v_sub_f32_e32 v17, v3, v9
	v_sub_f32_e32 v18, v4, v10
	ds_read2_b64 v[7:10], v1 offset0:30 offset1:205
	v_add_u32_e32 v1, 0x2a00, v38
	v_fma_f32 v16, v2, 2.0, -v14
	v_fma_f32 v30, v3, 2.0, -v17
	;; [unrolled: 1-line block ×3, first 2 shown]
	ds_read2_b64 v[1:4], v1 offset0:56 offset1:231
	s_waitcnt lgkmcnt(1)
	v_sub_f32_e32 v11, v7, v11
	v_sub_f32_e32 v12, v8, v12
	v_fma_f32 v7, v7, 2.0, -v11
	v_fma_f32 v8, v8, 2.0, -v12
	s_waitcnt lgkmcnt(0)
	v_sub_f32_e32 v32, v9, v1
	v_sub_f32_e32 v33, v10, v2
	v_add_u32_e32 v2, v38, v25
	v_fma_f32 v9, v9, 2.0, -v32
	v_fma_f32 v10, v10, 2.0, -v33
	s_barrier
	ds_write2_b64 v2, v[15:16], v[13:14] offset1:1
	v_lshl_add_u32 v1, v26, 4, 0
	v_add_u32_e32 v2, 0x20d0, v2
	ds_write2_b64 v1, v[30:31], v[17:18] offset1:1
	ds_write2_b64 v27, v[7:8], v[11:12] offset1:1
	;; [unrolled: 1-line block ×3, first 2 shown]
	v_sub_f32_e32 v2, v5, v3
	v_sub_f32_e32 v3, v6, v4
	v_fma_f32 v4, v5, 2.0, -v2
	v_fma_f32 v5, v6, 2.0, -v3
	v_and_b32_e32 v19, 1, v24
	ds_write2_b64 v39, v[4:5], v[2:3] offset1:1
	v_lshlrev_b32_e32 v2, 5, v19
	s_waitcnt lgkmcnt(0)
	s_barrier
	global_load_dwordx4 v[3:6], v2, s[12:13]
	v_and_b32_e32 v40, 1, v26
	v_lshlrev_b32_e32 v30, 5, v40
	global_load_dwordx4 v[7:10], v30, s[12:13]
	global_load_dwordx4 v[11:14], v2, s[12:13] offset:16
	global_load_dwordx4 v[15:18], v30, s[12:13] offset:16
	v_lshlrev_b32_e32 v42, 3, v28
	v_lshlrev_b32_e32 v41, 3, v29
	;; [unrolled: 1-line block ×3, first 2 shown]
	v_sub_u32_e32 v52, v39, v42
	v_sub_u32_e32 v51, v27, v41
	;; [unrolled: 1-line block ×3, first 2 shown]
	v_add_u32_e32 v54, 0x1a00, v38
	v_add_u32_e32 v55, 0x2400, v38
	ds_read_b64 v[43:44], v52
	ds_read_b64 v[45:46], v51
	ds_read2_b64 v[30:33], v54 offset0:43 offset1:218
	ds_read2_b64 v[34:37], v55 offset0:73 offset1:248
	ds_read_b64 v[47:48], v38 offset:12600
	ds_read_b64 v[49:50], v53
	s_movk_i32 s4, 0xcd
	v_sub_u32_e32 v2, 0, v2
	s_waitcnt vmcnt(3) lgkmcnt(4)
	v_mul_f32_e32 v56, v4, v46
	v_mul_f32_e32 v57, v4, v45
	v_fma_f32 v45, v3, v45, -v56
	v_fmac_f32_e32 v57, v3, v46
	ds_read_b64 v[3:4], v38 offset:4200
	v_mul_f32_e32 v58, v6, v44
	v_mul_f32_e32 v46, v6, v43
	v_fma_f32 v43, v5, v43, -v58
	v_fmac_f32_e32 v46, v5, v44
	ds_read_b64 v[5:6], v38
	s_waitcnt vmcnt(2) lgkmcnt(1)
	v_mul_f32_e32 v44, v8, v4
	v_mul_f32_e32 v56, v8, v3
	;; [unrolled: 1-line block ×3, first 2 shown]
	v_fma_f32 v44, v7, v3, -v44
	s_waitcnt vmcnt(1)
	v_mul_f32_e32 v3, v12, v33
	v_mul_f32_e32 v8, v31, v10
	v_fmac_f32_e32 v58, v31, v9
	v_fma_f32 v31, v11, v32, -v3
	v_mul_f32_e32 v12, v12, v32
	v_mul_f32_e32 v3, v14, v37
	;; [unrolled: 1-line block ×3, first 2 shown]
	v_fmac_f32_e32 v12, v11, v33
	v_fmac_f32_e32 v14, v13, v37
	v_fma_f32 v30, v30, v9, -v8
	v_fma_f32 v11, v13, v36, -v3
	s_waitcnt vmcnt(0)
	v_mul_f32_e32 v3, v35, v16
	v_sub_f32_e32 v9, v57, v46
	v_sub_f32_e32 v10, v14, v12
	v_fmac_f32_e32 v56, v7, v4
	v_fma_f32 v13, v34, v15, -v3
	v_mul_f32_e32 v16, v34, v16
	v_mul_f32_e32 v3, v48, v18
	v_add_f32_e32 v7, v43, v31
	v_add_f32_e32 v8, v46, v12
	;; [unrolled: 1-line block ×3, first 2 shown]
	v_lshrrev_b32_e32 v9, 1, v24
	v_fmac_f32_e32 v16, v35, v15
	v_fma_f32 v15, v47, v17, -v3
	v_mul_f32_e32 v18, v47, v18
	v_sub_f32_e32 v3, v45, v43
	v_sub_f32_e32 v4, v11, v31
	s_waitcnt lgkmcnt(0)
	v_fma_f32 v7, -0.5, v7, v5
	v_fma_f32 v8, -0.5, v8, v6
	v_mul_u32_u24_e32 v9, 10, v9
	v_fmac_f32_e32 v18, v48, v17
	v_add_f32_e32 v17, v3, v4
	v_add_f32_e32 v3, v5, v45
	v_add_f32_e32 v4, v6, v57
	v_or_b32_e32 v19, v9, v19
	v_sub_f32_e32 v33, v57, v14
	v_mov_b32_e32 v9, v7
	v_mov_b32_e32 v10, v8
	v_sub_f32_e32 v35, v45, v11
	v_add_f32_e32 v3, v3, v43
	v_add_f32_e32 v4, v4, v46
	v_fmac_f32_e32 v9, 0x3f737871, v33
	v_sub_f32_e32 v34, v46, v12
	v_fmac_f32_e32 v10, 0xbf737871, v35
	v_sub_f32_e32 v36, v43, v31
	v_add_f32_e32 v3, v3, v31
	v_add_f32_e32 v4, v4, v12
	v_fmac_f32_e32 v9, 0x3f167918, v34
	v_fmac_f32_e32 v10, 0xbf167918, v36
	v_add_f32_e32 v3, v3, v11
	v_add_f32_e32 v4, v4, v14
	v_fmac_f32_e32 v9, 0x3e9e377a, v17
	v_fmac_f32_e32 v10, 0x3e9e377a, v32
	v_lshl_add_u32 v19, v19, 3, 0
	s_barrier
	ds_write2_b64 v19, v[3:4], v[9:10] offset1:2
	v_add_f32_e32 v3, v45, v11
	v_fma_f32 v5, -0.5, v3, v5
	v_sub_f32_e32 v3, v43, v45
	v_sub_f32_e32 v4, v31, v11
	v_add_f32_e32 v4, v3, v4
	v_mov_b32_e32 v3, v5
	v_fmac_f32_e32 v3, 0xbf737871, v34
	v_fmac_f32_e32 v5, 0x3f737871, v34
	;; [unrolled: 1-line block ×6, first 2 shown]
	v_add_f32_e32 v4, v57, v14
	v_fmac_f32_e32 v7, 0xbf737871, v33
	v_fmac_f32_e32 v8, 0x3f737871, v35
	v_fmac_f32_e32 v6, -0.5, v4
	v_sub_f32_e32 v4, v46, v57
	v_sub_f32_e32 v9, v12, v14
	v_fmac_f32_e32 v7, 0xbf167918, v34
	v_fmac_f32_e32 v8, 0x3f167918, v36
	v_add_f32_e32 v9, v4, v9
	v_mov_b32_e32 v4, v6
	v_fmac_f32_e32 v7, 0x3e9e377a, v17
	v_fmac_f32_e32 v8, 0x3e9e377a, v32
	;; [unrolled: 1-line block ×4, first 2 shown]
	ds_write_b64 v19, v[7:8] offset:64
	v_lshrrev_b32_e32 v7, 1, v26
	v_fmac_f32_e32 v4, 0xbf167918, v35
	v_fmac_f32_e32 v6, 0x3f167918, v35
	v_mul_lo_u32 v7, v7, 10
	v_fmac_f32_e32 v4, 0x3e9e377a, v9
	v_fmac_f32_e32 v6, 0x3e9e377a, v9
	ds_write2_b64 v19, v[3:4], v[5:6] offset0:4 offset1:6
	v_add_f32_e32 v5, v30, v13
	v_add_f32_e32 v6, v58, v16
	v_sub_f32_e32 v3, v44, v30
	v_sub_f32_e32 v4, v15, v13
	v_fma_f32 v5, -0.5, v5, v49
	v_fma_f32 v6, -0.5, v6, v50
	v_sub_f32_e32 v8, v56, v58
	v_sub_f32_e32 v10, v18, v16
	v_add_f32_e32 v9, v3, v4
	v_add_f32_e32 v3, v49, v44
	;; [unrolled: 1-line block ×4, first 2 shown]
	v_or_b32_e32 v11, v7, v40
	v_sub_f32_e32 v12, v56, v18
	v_mov_b32_e32 v7, v5
	v_mov_b32_e32 v8, v6
	v_sub_f32_e32 v17, v44, v15
	v_add_f32_e32 v3, v3, v30
	v_add_f32_e32 v4, v4, v58
	v_fmac_f32_e32 v7, 0x3f737871, v12
	v_sub_f32_e32 v14, v58, v16
	v_fmac_f32_e32 v8, 0xbf737871, v17
	v_sub_f32_e32 v19, v30, v13
	v_add_f32_e32 v3, v3, v13
	v_add_f32_e32 v4, v4, v16
	v_fmac_f32_e32 v7, 0x3f167918, v14
	v_fmac_f32_e32 v8, 0xbf167918, v19
	v_add_f32_e32 v3, v3, v15
	v_add_f32_e32 v4, v4, v18
	v_fmac_f32_e32 v7, 0x3e9e377a, v9
	v_fmac_f32_e32 v8, 0x3e9e377a, v10
	v_lshl_add_u32 v11, v11, 3, 0
	ds_write2_b64 v11, v[3:4], v[7:8] offset1:2
	v_add_f32_e32 v3, v44, v15
	v_fma_f32 v49, -0.5, v3, v49
	v_sub_f32_e32 v3, v30, v44
	v_sub_f32_e32 v4, v13, v15
	v_add_f32_e32 v4, v3, v4
	v_mov_b32_e32 v3, v49
	v_fmac_f32_e32 v3, 0xbf737871, v14
	v_fmac_f32_e32 v49, 0x3f737871, v14
	;; [unrolled: 1-line block ×6, first 2 shown]
	v_add_f32_e32 v4, v56, v18
	v_fmac_f32_e32 v50, -0.5, v4
	v_sub_f32_e32 v4, v58, v56
	v_sub_f32_e32 v7, v16, v18
	v_add_f32_e32 v7, v4, v7
	v_mov_b32_e32 v4, v50
	v_fmac_f32_e32 v4, 0x3f737871, v19
	v_fmac_f32_e32 v50, 0xbf737871, v19
	v_fmac_f32_e32 v4, 0xbf167918, v17
	v_fmac_f32_e32 v50, 0x3f167918, v17
	v_fmac_f32_e32 v4, 0x3e9e377a, v7
	v_fmac_f32_e32 v50, 0x3e9e377a, v7
	ds_write2_b64 v11, v[3:4], v[49:50] offset0:4 offset1:6
	v_fmac_f32_e32 v6, 0x3f737871, v17
	v_mul_lo_u16_sdwa v3, v24, s4 dst_sel:DWORD dst_unused:UNUSED_PAD src0_sel:BYTE_0 src1_sel:DWORD
	v_fmac_f32_e32 v6, 0x3f167918, v19
	v_lshrrev_b16_e32 v19, 11, v3
	v_fmac_f32_e32 v5, 0xbf737871, v12
	v_mul_lo_u16_e32 v3, 10, v19
	v_fmac_f32_e32 v5, 0xbf167918, v14
	v_sub_u16_e32 v40, v24, v3
	v_mov_b32_e32 v3, 5
	v_fmac_f32_e32 v5, 0x3e9e377a, v9
	v_fmac_f32_e32 v6, 0x3e9e377a, v10
	v_lshlrev_b32_sdwa v30, v3, v40 dst_sel:DWORD dst_unused:UNUSED_PAD src0_sel:DWORD src1_sel:BYTE_0
	ds_write_b64 v11, v[5:6] offset:64
	s_waitcnt lgkmcnt(0)
	s_barrier
	global_load_dwordx4 v[3:6], v30, s[12:13] offset:64
	s_mov_b32 s4, 0xcccd
	v_mul_u32_u24_sdwa v7, v26, s4 dst_sel:DWORD dst_unused:UNUSED_PAD src0_sel:WORD_0 src1_sel:DWORD
	v_lshrrev_b32_e32 v44, 19, v7
	v_mul_lo_u16_e32 v7, 10, v44
	v_sub_u16_e32 v45, v26, v7
	v_lshlrev_b32_e32 v31, 5, v45
	global_load_dwordx4 v[7:10], v31, s[12:13] offset:64
	global_load_dwordx4 v[11:14], v30, s[12:13] offset:80
	;; [unrolled: 1-line block ×3, first 2 shown]
	ds_read_b64 v[30:31], v51
	ds_read_b64 v[32:33], v38 offset:12600
	ds_read_b64 v[34:35], v52
	s_movk_i32 s4, 0x4b
	v_cmp_gt_u32_e32 vcc, s4, v24
	s_waitcnt vmcnt(3) lgkmcnt(2)
	v_mul_f32_e32 v36, v4, v31
	v_mul_f32_e32 v47, v4, v30
	v_fma_f32 v46, v3, v30, -v36
	v_fmac_f32_e32 v47, v3, v31
	ds_read_b64 v[30:31], v53
	ds_read_b64 v[36:37], v38 offset:4200
	s_waitcnt lgkmcnt(2)
	v_mul_f32_e32 v3, v6, v35
	v_mul_f32_e32 v49, v6, v34
	v_fma_f32 v48, v5, v34, -v3
	v_fmac_f32_e32 v49, v5, v35
	ds_read2_b64 v[3:6], v54 offset0:43 offset1:218
	ds_read_b64 v[34:35], v38
	s_waitcnt vmcnt(2) lgkmcnt(2)
	v_mul_f32_e32 v43, v8, v37
	v_fma_f32 v50, v7, v36, -v43
	v_mul_f32_e32 v36, v8, v36
	v_fmac_f32_e32 v36, v7, v37
	s_waitcnt lgkmcnt(1)
	v_mul_f32_e32 v7, v4, v10
	v_mul_f32_e32 v51, v3, v10
	v_fma_f32 v37, v3, v9, -v7
	v_fmac_f32_e32 v51, v4, v9
	ds_read2_b64 v[7:10], v55 offset0:73 offset1:248
	s_waitcnt vmcnt(1)
	v_mul_f32_e32 v3, v12, v6
	v_fma_f32 v52, v11, v5, -v3
	v_mul_f32_e32 v12, v12, v5
	v_fmac_f32_e32 v12, v11, v6
	s_waitcnt lgkmcnt(0)
	v_mul_f32_e32 v3, v14, v10
	v_fma_f32 v11, v13, v9, -v3
	v_mul_f32_e32 v9, v14, v9
	v_fmac_f32_e32 v9, v13, v10
	s_waitcnt vmcnt(0)
	v_mul_f32_e32 v3, v8, v16
	v_mul_f32_e32 v13, v7, v16
	v_fma_f32 v10, v7, v15, -v3
	v_fmac_f32_e32 v13, v8, v15
	v_mul_f32_e32 v3, v33, v18
	v_mul_f32_e32 v15, v32, v18
	v_add_f32_e32 v5, v48, v52
	v_add_f32_e32 v6, v49, v12
	v_sub_f32_e32 v7, v47, v49
	v_sub_f32_e32 v8, v9, v12
	v_mov_b32_e32 v43, 3
	v_fma_f32 v14, v32, v17, -v3
	v_fmac_f32_e32 v15, v33, v17
	v_sub_f32_e32 v3, v46, v48
	v_sub_f32_e32 v4, v11, v52
	v_fma_f32 v5, -0.5, v5, v34
	v_fma_f32 v6, -0.5, v6, v35
	v_add_f32_e32 v17, v7, v8
	v_mul_u32_u24_e32 v7, 0x190, v19
	v_lshlrev_b32_sdwa v8, v43, v40 dst_sel:DWORD dst_unused:UNUSED_PAD src0_sel:DWORD src1_sel:BYTE_0
	v_add_f32_e32 v16, v3, v4
	v_add_f32_e32 v3, v34, v46
	;; [unrolled: 1-line block ×3, first 2 shown]
	v_add3_u32 v18, 0, v7, v8
	v_sub_f32_e32 v19, v47, v9
	v_mov_b32_e32 v7, v5
	v_mov_b32_e32 v8, v6
	v_sub_f32_e32 v33, v46, v11
	v_add_f32_e32 v3, v3, v48
	v_add_f32_e32 v4, v4, v49
	v_fmac_f32_e32 v7, 0x3f737871, v19
	v_sub_f32_e32 v32, v49, v12
	v_fmac_f32_e32 v8, 0xbf737871, v33
	v_sub_f32_e32 v40, v48, v52
	v_add_f32_e32 v3, v3, v52
	v_add_f32_e32 v4, v4, v12
	v_fmac_f32_e32 v7, 0x3f167918, v32
	v_fmac_f32_e32 v8, 0xbf167918, v40
	v_add_f32_e32 v3, v3, v11
	v_add_f32_e32 v4, v4, v9
	v_fmac_f32_e32 v7, 0x3e9e377a, v16
	v_fmac_f32_e32 v8, 0x3e9e377a, v17
	s_barrier
	ds_write2_b64 v18, v[3:4], v[7:8] offset1:10
	v_add_f32_e32 v3, v46, v11
	v_fma_f32 v34, -0.5, v3, v34
	v_sub_f32_e32 v3, v48, v46
	v_sub_f32_e32 v4, v52, v11
	v_add_f32_e32 v4, v3, v4
	v_mov_b32_e32 v3, v34
	v_fmac_f32_e32 v3, 0xbf737871, v32
	v_fmac_f32_e32 v34, 0x3f737871, v32
	;; [unrolled: 1-line block ×6, first 2 shown]
	v_add_f32_e32 v4, v47, v9
	v_fmac_f32_e32 v35, -0.5, v4
	v_sub_f32_e32 v4, v49, v47
	v_sub_f32_e32 v7, v12, v9
	v_add_f32_e32 v7, v4, v7
	v_mov_b32_e32 v4, v35
	v_fmac_f32_e32 v5, 0xbf737871, v19
	v_fmac_f32_e32 v6, 0x3f737871, v33
	;; [unrolled: 1-line block ×12, first 2 shown]
	ds_write_b64 v18, v[5:6] offset:320
	v_add_f32_e32 v5, v37, v10
	ds_write2_b64 v18, v[3:4], v[34:35] offset0:20 offset1:30
	v_fma_f32 v34, -0.5, v5, v30
	v_add_f32_e32 v5, v51, v13
	v_fma_f32 v35, -0.5, v5, v31
	v_sub_f32_e32 v5, v36, v51
	v_sub_f32_e32 v6, v15, v13
	v_sub_f32_e32 v3, v50, v37
	v_sub_f32_e32 v4, v14, v10
	v_add_f32_e32 v8, v5, v6
	v_mul_u32_u24_e32 v5, 0x190, v44
	v_lshlrev_b32_e32 v6, 3, v45
	v_add_f32_e32 v7, v3, v4
	v_add_f32_e32 v3, v30, v50
	;; [unrolled: 1-line block ×3, first 2 shown]
	v_add3_u32 v9, 0, v5, v6
	v_sub_f32_e32 v11, v36, v15
	v_mov_b32_e32 v5, v34
	v_mov_b32_e32 v6, v35
	v_sub_f32_e32 v16, v50, v14
	v_add_f32_e32 v3, v3, v37
	v_add_f32_e32 v4, v4, v51
	v_fmac_f32_e32 v5, 0x3f737871, v11
	v_sub_f32_e32 v12, v51, v13
	v_fmac_f32_e32 v6, 0xbf737871, v16
	v_sub_f32_e32 v17, v37, v10
	v_add_f32_e32 v3, v3, v10
	v_add_f32_e32 v4, v4, v13
	v_fmac_f32_e32 v5, 0x3f167918, v12
	v_fmac_f32_e32 v6, 0xbf167918, v17
	v_add_f32_e32 v3, v3, v14
	v_add_f32_e32 v4, v4, v15
	v_fmac_f32_e32 v5, 0x3e9e377a, v7
	v_fmac_f32_e32 v6, 0x3e9e377a, v8
	ds_write2_b64 v9, v[3:4], v[5:6] offset1:10
	v_add_f32_e32 v3, v50, v14
	v_fma_f32 v30, -0.5, v3, v30
	v_mov_b32_e32 v32, v30
	v_sub_f32_e32 v3, v37, v50
	v_sub_f32_e32 v4, v10, v14
	v_fmac_f32_e32 v32, 0xbf737871, v12
	v_fmac_f32_e32 v30, 0x3f737871, v12
	v_add_f32_e32 v3, v3, v4
	v_fmac_f32_e32 v32, 0x3f167918, v11
	v_fmac_f32_e32 v30, 0xbf167918, v11
	;; [unrolled: 1-line block ×4, first 2 shown]
	v_add_f32_e32 v3, v36, v15
	v_fmac_f32_e32 v31, -0.5, v3
	v_mov_b32_e32 v33, v31
	v_sub_f32_e32 v3, v51, v36
	v_sub_f32_e32 v4, v13, v15
	v_fmac_f32_e32 v33, 0x3f737871, v17
	v_fmac_f32_e32 v31, 0xbf737871, v17
	;; [unrolled: 1-line block ×4, first 2 shown]
	v_add_f32_e32 v3, v3, v4
	v_fmac_f32_e32 v33, 0xbf167918, v16
	v_fmac_f32_e32 v31, 0x3f167918, v16
	;; [unrolled: 1-line block ×8, first 2 shown]
	ds_write2_b64 v9, v[32:33], v[30:31] offset0:20 offset1:30
	ds_write_b64 v9, v[34:35] offset:320
	s_waitcnt lgkmcnt(0)
	s_barrier
	v_add_u32_e32 v3, 0xf80, v38
	v_add_u32_e32 v4, 0x1f40, v38
	ds_read_b64 v[36:37], v38 offset:12000
	ds_read2_b64 v[16:19], v3 offset0:4 offset1:254
	ds_read2_b64 v[12:15], v4 offset1:250
	ds_read2_b64 v[8:11], v38 offset1:250
	v_add_u32_e32 v40, v1, v2
                                        ; implicit-def: $vgpr3
                                        ; implicit-def: $vgpr7
	s_and_saveexec_b64 s[4:5], vcc
	s_cbranch_execz .LBB0_15
; %bb.14:
	ds_read_b64 v[32:33], v40
	ds_read_b64 v[30:31], v38 offset:3400
	ds_read2_b32 v[34:35], v0 offset0:70 offset1:71
	v_add_u32_e32 v0, 0x1cc0, v38
	v_add_u32_e32 v4, 0x2c80, v38
	ds_read2_b64 v[0:3], v0 offset0:5 offset1:255
	ds_read2_b64 v[4:7], v4 offset0:1 offset1:251
.LBB0_15:
	s_or_b64 exec, exec, s[4:5]
	v_mov_b32_e32 v44, 41
	v_mul_lo_u16_sdwa v45, v24, v44 dst_sel:DWORD dst_unused:UNUSED_PAD src0_sel:BYTE_0 src1_sel:DWORD
	v_lshrrev_b16_e32 v57, 11, v45
	v_mul_lo_u16_e32 v45, 50, v57
	v_sub_u16_e32 v58, v24, v45
	v_mov_b32_e32 v45, 6
	v_mul_u32_u24_sdwa v45, v58, v45 dst_sel:DWORD dst_unused:UNUSED_PAD src0_sel:BYTE_0 src1_sel:DWORD
	v_lshlrev_b32_e32 v59, 3, v45
	global_load_dwordx4 v[45:48], v59, s[12:13] offset:416
	global_load_dwordx4 v[49:52], v59, s[12:13] offset:400
	;; [unrolled: 1-line block ×3, first 2 shown]
	s_mov_b32 s6, 0x3f5ff5aa
	s_mov_b32 s7, 0x3f3bfb3b
	;; [unrolled: 1-line block ×4, first 2 shown]
	v_lshlrev_b32_sdwa v43, v43, v58 dst_sel:DWORD dst_unused:UNUSED_PAD src0_sel:DWORD src1_sel:BYTE_0
	v_sub_u32_e32 v41, 0, v41
	v_sub_u32_e32 v42, 0, v42
	s_waitcnt vmcnt(0) lgkmcnt(0)
	s_barrier
	v_mul_f32_e32 v59, v54, v11
	v_fma_f32 v59, v53, v10, -v59
	v_mul_f32_e32 v10, v54, v10
	v_fmac_f32_e32 v10, v53, v11
	v_mul_f32_e32 v11, v56, v17
	v_fma_f32 v11, v55, v16, -v11
	v_mul_f32_e32 v16, v56, v16
	v_fmac_f32_e32 v16, v55, v17
	;; [unrolled: 4-line block ×6, first 2 shown]
	v_add_f32_e32 v37, v59, v15
	v_add_f32_e32 v45, v10, v36
	v_sub_f32_e32 v10, v10, v36
	v_add_f32_e32 v36, v11, v13
	v_add_f32_e32 v46, v16, v14
	v_sub_f32_e32 v11, v11, v13
	v_sub_f32_e32 v13, v16, v14
	v_add_f32_e32 v14, v17, v19
	v_add_f32_e32 v16, v18, v12
	v_sub_f32_e32 v12, v12, v18
	v_add_f32_e32 v18, v36, v37
	v_sub_f32_e32 v17, v19, v17
	;; [unrolled: 2-line block ×3, first 2 shown]
	v_sub_f32_e32 v37, v37, v14
	v_sub_f32_e32 v36, v14, v36
	v_add_f32_e32 v14, v14, v18
	v_sub_f32_e32 v48, v46, v45
	v_sub_f32_e32 v45, v45, v16
	;; [unrolled: 1-line block ×3, first 2 shown]
	v_add_f32_e32 v16, v16, v19
	v_add_f32_e32 v8, v14, v8
	v_sub_f32_e32 v15, v59, v15
	v_add_f32_e32 v49, v17, v11
	v_add_f32_e32 v50, v12, v13
	v_sub_f32_e32 v51, v17, v11
	v_sub_f32_e32 v52, v12, v13
	v_add_f32_e32 v9, v16, v9
	v_mov_b32_e32 v53, v8
	v_sub_f32_e32 v17, v15, v17
	v_sub_f32_e32 v12, v10, v12
	v_sub_f32_e32 v11, v11, v15
	v_sub_f32_e32 v13, v13, v10
	v_add_f32_e32 v15, v49, v15
	v_add_f32_e32 v10, v50, v10
	v_mul_f32_e32 v18, 0x3f4a47b2, v37
	v_mul_f32_e32 v19, 0x3f4a47b2, v45
	;; [unrolled: 1-line block ×6, first 2 shown]
	v_fmac_f32_e32 v53, 0xbf955555, v14
	v_mov_b32_e32 v14, v9
	v_mul_f32_e32 v51, 0x3f5ff5aa, v11
	v_mul_f32_e32 v52, 0x3f5ff5aa, v13
	v_fmac_f32_e32 v14, 0xbf955555, v16
	v_fma_f32 v16, v47, s7, -v37
	v_fma_f32 v37, v48, s7, -v45
	;; [unrolled: 1-line block ×3, first 2 shown]
	v_fmac_f32_e32 v18, 0x3d64c772, v36
	v_fma_f32 v36, v48, s8, -v19
	v_fmac_f32_e32 v19, 0x3d64c772, v46
	v_fma_f32 v46, v11, s6, -v49
	;; [unrolled: 2-line block ×4, first 2 shown]
	v_fma_f32 v51, v12, s9, -v52
	v_add_f32_e32 v52, v18, v53
	v_add_f32_e32 v54, v19, v14
	;; [unrolled: 1-line block ×3, first 2 shown]
	v_fmac_f32_e32 v49, 0x3ee1c552, v15
	v_fmac_f32_e32 v50, 0x3ee1c552, v10
	v_mul_u32_u24_e32 v45, 0xaf0, v57
	v_add_f32_e32 v16, v16, v53
	v_add_f32_e32 v17, v37, v14
	;; [unrolled: 1-line block ×3, first 2 shown]
	v_fmac_f32_e32 v46, 0x3ee1c552, v15
	v_fmac_f32_e32 v47, 0x3ee1c552, v10
	;; [unrolled: 1-line block ×4, first 2 shown]
	v_add_f32_e32 v10, v50, v52
	v_sub_f32_e32 v11, v54, v49
	v_add3_u32 v43, 0, v45, v43
	v_add_f32_e32 v12, v51, v18
	v_sub_f32_e32 v13, v19, v48
	v_sub_f32_e32 v14, v16, v47
	v_add_f32_e32 v15, v46, v17
	v_add_f32_e32 v16, v47, v16
	v_sub_f32_e32 v17, v17, v46
	v_sub_f32_e32 v18, v18, v51
	v_add_f32_e32 v19, v48, v19
	v_sub_f32_e32 v36, v52, v50
	v_add_f32_e32 v37, v49, v54
	ds_write2_b64 v43, v[8:9], v[10:11] offset1:50
	ds_write2_b64 v43, v[12:13], v[14:15] offset0:100 offset1:150
	ds_write2_b64 v43, v[16:17], v[18:19] offset0:200 offset1:250
	ds_write_b64 v43, v[36:37] offset:2400
	s_and_saveexec_b64 s[4:5], vcc
	s_cbranch_execz .LBB0_17
; %bb.16:
	v_lshrrev_b16_e32 v8, 1, v26
	v_mul_u32_u24_e32 v8, 0x147b, v8
	v_lshrrev_b32_e32 v8, 17, v8
	v_mul_lo_u16_e32 v8, 50, v8
	v_sub_u16_e32 v36, v26, v8
	v_mul_u32_u24_e32 v8, 6, v36
	v_lshlrev_b32_e32 v37, 3, v8
	global_load_dwordx4 v[8:11], v37, s[12:13] offset:384
	global_load_dwordx4 v[12:15], v37, s[12:13] offset:416
	;; [unrolled: 1-line block ×3, first 2 shown]
	s_waitcnt vmcnt(2)
	v_mul_f32_e32 v37, v31, v9
	s_waitcnt vmcnt(1)
	v_mul_f32_e32 v43, v7, v15
	;; [unrolled: 2-line block ×3, first 2 shown]
	v_mul_f32_e32 v46, v1, v17
	v_mul_f32_e32 v47, v35, v11
	;; [unrolled: 1-line block ×9, first 2 shown]
	v_fma_f32 v30, v30, v8, -v37
	v_fma_f32 v6, v6, v14, -v43
	;; [unrolled: 1-line block ×6, first 2 shown]
	v_fmac_f32_e32 v15, v7, v14
	v_fmac_f32_e32 v9, v31, v8
	v_fmac_f32_e32 v17, v1, v16
	v_fmac_f32_e32 v19, v3, v18
	v_sub_f32_e32 v1, v30, v6
	v_sub_f32_e32 v3, v2, v0
	v_add_f32_e32 v7, v9, v15
	v_add_f32_e32 v8, v17, v19
	;; [unrolled: 1-line block ×5, first 2 shown]
	v_fmac_f32_e32 v13, v5, v12
	v_fmac_f32_e32 v11, v35, v10
	v_sub_f32_e32 v5, v34, v4
	v_sub_f32_e32 v4, v9, v15
	;; [unrolled: 1-line block ×4, first 2 shown]
	v_add_f32_e32 v19, v2, v6
	v_add_f32_e32 v10, v11, v13
	v_sub_f32_e32 v11, v11, v13
	v_sub_f32_e32 v12, v1, v3
	;; [unrolled: 1-line block ×3, first 2 shown]
	v_add_f32_e32 v3, v3, v5
	v_sub_f32_e32 v17, v6, v0
	v_sub_f32_e32 v18, v0, v2
	;; [unrolled: 1-line block ×4, first 2 shown]
	v_mul_f32_e32 v2, 0x3f4a47b2, v14
	v_add_f32_e32 v5, v0, v19
	v_sub_f32_e32 v15, v8, v10
	v_add_f32_e32 v16, v10, v7
	v_mov_b32_e32 v35, v2
	v_add_f32_e32 v0, v32, v5
	v_sub_f32_e32 v31, v9, v11
	v_sub_f32_e32 v7, v10, v7
	v_mul_f32_e32 v10, 0xbf08b237, v13
	v_add_f32_e32 v13, v3, v1
	v_mul_f32_e32 v14, 0x3d64c772, v15
	v_add_f32_e32 v3, v8, v16
	v_mul_f32_e32 v8, 0x3f4a47b2, v17
	v_fmac_f32_e32 v35, 0x3d64c772, v15
	v_mov_b32_e32 v15, v0
	v_mul_f32_e32 v17, 0xbf08b237, v31
	v_mul_f32_e32 v19, 0x3f5ff5aa, v34
	v_mov_b32_e32 v31, v10
	v_add_f32_e32 v1, v33, v3
	v_mov_b32_e32 v33, v8
	v_fmac_f32_e32 v15, 0xbf955555, v5
	v_fma_f32 v8, v6, s8, -v8
	v_sub_f32_e32 v30, v4, v9
	v_add_f32_e32 v9, v9, v11
	v_mul_f32_e32 v16, 0x3d64c772, v18
	v_mov_b32_e32 v32, v17
	v_fma_f32 v19, v12, s9, -v19
	v_fma_f32 v2, v7, s8, -v2
	v_fmac_f32_e32 v31, 0x3eae86e6, v12
	v_mov_b32_e32 v12, v1
	v_add_f32_e32 v37, v8, v15
	v_sub_f32_e32 v8, v11, v4
	v_fma_f32 v7, v7, s7, -v14
	v_mul_lo_u16_sdwa v14, v26, v44 dst_sel:DWORD dst_unused:UNUSED_PAD src0_sel:BYTE_0 src1_sel:DWORD
	v_add_f32_e32 v9, v9, v4
	v_fmac_f32_e32 v33, 0x3d64c772, v18
	v_fmac_f32_e32 v32, 0x3eae86e6, v30
	;; [unrolled: 1-line block ×3, first 2 shown]
	v_mul_f32_e32 v4, 0x3f5ff5aa, v8
	v_fma_f32 v8, v8, s6, -v17
	v_fma_f32 v6, v6, s7, -v16
	v_lshrrev_b16_e32 v14, 11, v14
	v_fmac_f32_e32 v31, 0x3ee1c552, v13
	v_fmac_f32_e32 v32, 0x3ee1c552, v9
	v_add_f32_e32 v18, v35, v12
	v_add_f32_e32 v33, v33, v15
	;; [unrolled: 1-line block ×3, first 2 shown]
	v_fma_f32 v30, v30, s9, -v4
	v_add_f32_e32 v11, v7, v12
	v_fma_f32 v10, v34, s6, -v10
	v_fmac_f32_e32 v8, 0x3ee1c552, v9
	v_add_f32_e32 v12, v6, v15
	v_mul_u32_u24_e32 v14, 0xaf0, v14
	v_lshlrev_b32_e32 v15, 3, v36
	v_fmac_f32_e32 v19, 0x3ee1c552, v13
	v_fmac_f32_e32 v30, 0x3ee1c552, v9
	;; [unrolled: 1-line block ×3, first 2 shown]
	v_add_f32_e32 v6, v8, v12
	v_sub_f32_e32 v8, v12, v8
	v_sub_f32_e32 v13, v18, v31
	v_add_f32_e32 v12, v32, v33
	v_add3_u32 v14, 0, v14, v15
	v_add_f32_e32 v3, v31, v18
	v_sub_f32_e32 v2, v33, v32
	v_add_f32_e32 v5, v19, v35
	v_sub_f32_e32 v4, v37, v30
	v_sub_f32_e32 v7, v11, v10
	v_add_f32_e32 v9, v10, v11
	v_sub_f32_e32 v11, v35, v19
	v_add_f32_e32 v10, v30, v37
	ds_write2_b64 v14, v[0:1], v[12:13] offset1:50
	ds_write2_b64 v14, v[10:11], v[8:9] offset0:100 offset1:150
	ds_write2_b64 v14, v[6:7], v[4:5] offset0:200 offset1:250
	ds_write_b64 v14, v[2:3] offset:2400
.LBB0_17:
	s_or_b64 exec, exec, s[4:5]
	v_lshlrev_b32_e32 v0, 2, v24
	v_mov_b32_e32 v1, 0
	v_lshlrev_b64 v[2:3], 3, v[0:1]
	v_mov_b32_e32 v4, s13
	v_add_co_u32_e32 v2, vcc, s12, v2
	v_addc_co_u32_e32 v3, vcc, v4, v3, vcc
	v_lshlrev_b32_e32 v0, 2, v26
	s_waitcnt lgkmcnt(0)
	s_barrier
	global_load_dwordx4 v[6:9], v[2:3], off offset:2784
	global_load_dwordx4 v[10:13], v[2:3], off offset:2800
	v_lshlrev_b64 v[2:3], 3, v[0:1]
	v_add_u32_e32 v5, v27, v41
	v_add_co_u32_e32 v2, vcc, s12, v2
	v_addc_co_u32_e32 v3, vcc, v4, v3, vcc
	global_load_dwordx4 v[14:17], v[2:3], off offset:2784
	global_load_dwordx4 v[30:33], v[2:3], off offset:2800
	v_add_u32_e32 v4, v39, v42
	v_add_u32_e32 v0, 0x1a00, v38
	;; [unrolled: 1-line block ×3, first 2 shown]
	ds_read_b64 v[2:3], v40
	ds_read_b64 v[18:19], v38
	ds_read_b64 v[45:46], v38 offset:4200
	ds_read_b64 v[47:48], v5
	ds_read_b64 v[49:50], v4
	ds_read2_b64 v[34:37], v0 offset0:43 offset1:218
	ds_read2_b64 v[41:44], v27 offset0:73 offset1:248
	ds_read_b64 v[51:52], v38 offset:12600
	s_waitcnt vmcnt(0) lgkmcnt(0)
	s_barrier
	s_add_u32 s6, s12, 0x36a0
	s_addc_u32 s7, s13, 0
	v_cmp_ne_u32_e32 vcc, 0, v24
	v_mul_f32_e32 v0, v7, v48
	v_mul_f32_e32 v27, v7, v47
	;; [unrolled: 1-line block ×8, first 2 shown]
	v_fma_f32 v0, v6, v47, -v0
	v_fmac_f32_e32 v27, v6, v48
	v_fma_f32 v47, v8, v49, -v7
	v_fma_f32 v36, v10, v36, -v9
	v_mul_f32_e32 v6, v15, v46
	v_mul_f32_e32 v7, v35, v17
	v_fmac_f32_e32 v39, v8, v50
	v_fmac_f32_e32 v53, v10, v37
	v_fma_f32 v9, v12, v43, -v11
	v_fmac_f32_e32 v54, v12, v44
	v_mul_f32_e32 v43, v34, v17
	v_mul_f32_e32 v8, v42, v31
	;; [unrolled: 1-line block ×5, first 2 shown]
	v_fma_f32 v31, v14, v45, -v6
	v_fma_f32 v33, v34, v16, -v7
	v_add_f32_e32 v6, v18, v0
	v_add_f32_e32 v7, v47, v36
	v_fmac_f32_e32 v43, v35, v16
	v_fma_f32 v34, v41, v30, -v8
	v_fma_f32 v35, v51, v32, -v10
	v_sub_f32_e32 v8, v0, v47
	v_sub_f32_e32 v10, v9, v36
	v_add_f32_e32 v16, v6, v47
	v_fma_f32 v6, -0.5, v7, v18
	v_sub_f32_e32 v11, v27, v54
	v_add_f32_e32 v7, v8, v10
	v_mov_b32_e32 v8, v6
	v_sub_f32_e32 v13, v39, v53
	v_fmac_f32_e32 v6, 0xbf737871, v11
	v_fmac_f32_e32 v8, 0x3f737871, v11
	;; [unrolled: 1-line block ×4, first 2 shown]
	v_add_f32_e32 v12, v0, v9
	v_fmac_f32_e32 v6, 0x3e9e377a, v7
	v_fmac_f32_e32 v8, 0x3e9e377a, v7
	v_add_f32_e32 v7, v19, v27
	v_fma_f32 v18, -0.5, v12, v18
	v_add_f32_e32 v7, v7, v39
	v_mov_b32_e32 v10, v18
	v_add_f32_e32 v7, v7, v53
	v_mul_f32_e32 v37, v15, v45
	v_fmac_f32_e32 v10, 0xbf737871, v13
	v_fmac_f32_e32 v18, 0x3f737871, v13
	v_add_f32_e32 v13, v7, v54
	v_add_f32_e32 v7, v39, v53
	v_fmac_f32_e32 v37, v14, v46
	v_sub_f32_e32 v14, v47, v0
	v_sub_f32_e32 v15, v36, v9
	v_add_f32_e32 v12, v16, v36
	v_fma_f32 v7, -0.5, v7, v19
	v_add_f32_e32 v14, v14, v15
	v_add_f32_e32 v12, v12, v9
	v_fmac_f32_e32 v10, 0x3f167918, v11
	v_fmac_f32_e32 v18, 0xbf167918, v11
	v_sub_f32_e32 v0, v0, v9
	v_mov_b32_e32 v9, v7
	v_fmac_f32_e32 v10, 0x3e9e377a, v14
	v_fmac_f32_e32 v18, 0x3e9e377a, v14
	;; [unrolled: 1-line block ×3, first 2 shown]
	v_sub_f32_e32 v14, v47, v36
	v_sub_f32_e32 v11, v27, v39
	;; [unrolled: 1-line block ×3, first 2 shown]
	v_fmac_f32_e32 v7, 0x3f737871, v0
	v_fmac_f32_e32 v9, 0xbf167918, v14
	v_add_f32_e32 v11, v11, v15
	v_fmac_f32_e32 v7, 0x3f167918, v14
	v_fmac_f32_e32 v9, 0x3e9e377a, v11
	;; [unrolled: 1-line block ×3, first 2 shown]
	v_add_f32_e32 v11, v27, v54
	v_fmac_f32_e32 v19, -0.5, v11
	v_mov_b32_e32 v11, v19
	v_fmac_f32_e32 v11, 0x3f737871, v14
	v_fmac_f32_e32 v19, 0xbf737871, v14
	;; [unrolled: 1-line block ×4, first 2 shown]
	v_add_f32_e32 v0, v2, v31
	v_add_f32_e32 v0, v0, v33
	v_add_f32_e32 v0, v0, v34
	v_sub_f32_e32 v15, v39, v27
	v_sub_f32_e32 v16, v53, v54
	v_add_f32_e32 v14, v0, v35
	v_add_f32_e32 v0, v33, v34
	v_fmac_f32_e32 v48, v52, v32
	v_add_f32_e32 v15, v15, v16
	v_fma_f32 v16, -0.5, v0, v2
	v_fmac_f32_e32 v44, v42, v30
	v_sub_f32_e32 v0, v37, v48
	v_mov_b32_e32 v30, v16
	v_fmac_f32_e32 v11, 0x3e9e377a, v15
	v_fmac_f32_e32 v19, 0x3e9e377a, v15
	;; [unrolled: 1-line block ×3, first 2 shown]
	v_sub_f32_e32 v15, v43, v44
	v_sub_f32_e32 v17, v31, v33
	;; [unrolled: 1-line block ×3, first 2 shown]
	v_fmac_f32_e32 v16, 0xbf737871, v0
	v_fmac_f32_e32 v30, 0x3f167918, v15
	v_add_f32_e32 v17, v17, v27
	v_fmac_f32_e32 v16, 0xbf167918, v15
	v_fmac_f32_e32 v30, 0x3e9e377a, v17
	;; [unrolled: 1-line block ×3, first 2 shown]
	v_add_f32_e32 v17, v31, v35
	v_fma_f32 v2, -0.5, v17, v2
	v_mov_b32_e32 v32, v2
	v_fmac_f32_e32 v32, 0xbf737871, v15
	v_fmac_f32_e32 v2, 0x3f737871, v15
	;; [unrolled: 1-line block ×4, first 2 shown]
	v_add_f32_e32 v0, v3, v37
	v_add_f32_e32 v0, v0, v43
	v_sub_f32_e32 v17, v33, v31
	v_sub_f32_e32 v27, v34, v35
	v_add_f32_e32 v0, v0, v44
	v_add_f32_e32 v17, v17, v27
	;; [unrolled: 1-line block ×4, first 2 shown]
	v_fmac_f32_e32 v32, 0x3e9e377a, v17
	v_fmac_f32_e32 v2, 0x3e9e377a, v17
	v_fma_f32 v17, -0.5, v0, v3
	v_sub_f32_e32 v0, v31, v35
	v_mov_b32_e32 v31, v17
	v_fmac_f32_e32 v31, 0xbf737871, v0
	v_sub_f32_e32 v27, v33, v34
	v_sub_f32_e32 v33, v37, v43
	;; [unrolled: 1-line block ×3, first 2 shown]
	v_fmac_f32_e32 v17, 0x3f737871, v0
	v_fmac_f32_e32 v31, 0xbf167918, v27
	v_add_f32_e32 v33, v33, v34
	v_fmac_f32_e32 v17, 0x3f167918, v27
	v_fmac_f32_e32 v31, 0x3e9e377a, v33
	;; [unrolled: 1-line block ×3, first 2 shown]
	v_add_f32_e32 v33, v37, v48
	v_fmac_f32_e32 v3, -0.5, v33
	v_mov_b32_e32 v33, v3
	v_sub_f32_e32 v34, v43, v37
	v_sub_f32_e32 v35, v44, v48
	v_fmac_f32_e32 v3, 0xbf737871, v27
	v_fmac_f32_e32 v33, 0x3f737871, v27
	v_add_f32_e32 v34, v34, v35
	v_fmac_f32_e32 v3, 0x3f167918, v0
	v_fmac_f32_e32 v33, 0xbf167918, v0
	;; [unrolled: 1-line block ×4, first 2 shown]
	ds_write_b64 v38, v[12:13]
	ds_write_b64 v38, v[8:9] offset:2800
	ds_write_b64 v38, v[10:11] offset:5600
	;; [unrolled: 1-line block ×4, first 2 shown]
	ds_write_b64 v40, v[14:15]
	ds_write_b64 v40, v[30:31] offset:2800
	ds_write_b64 v40, v[32:33] offset:5600
	;; [unrolled: 1-line block ×4, first 2 shown]
	s_waitcnt lgkmcnt(0)
	s_barrier
	ds_read_b64 v[2:3], v38
	v_sub_u32_e32 v6, 0, v25
                                        ; implicit-def: $vgpr0
                                        ; implicit-def: $vgpr7
                                        ; implicit-def: $vgpr8
	s_and_saveexec_b64 s[4:5], vcc
	s_xor_b64 s[4:5], exec, s[4:5]
	s_cbranch_execz .LBB0_19
; %bb.18:
	v_mov_b32_e32 v25, v1
	v_lshlrev_b64 v[0:1], 3, v[24:25]
	v_mov_b32_e32 v7, s7
	v_add_co_u32_e32 v0, vcc, s6, v0
	v_addc_co_u32_e32 v1, vcc, v7, v1, vcc
	global_load_dwordx2 v[9:10], v[0:1], off
	ds_read_b64 v[0:1], v6 offset:14000
	s_waitcnt lgkmcnt(0)
	v_add_f32_e32 v11, v0, v2
	v_sub_f32_e32 v0, v2, v0
	v_add_f32_e32 v7, v1, v3
	v_sub_f32_e32 v1, v3, v1
	v_mul_f32_e32 v3, 0.5, v0
	v_mul_f32_e32 v2, 0.5, v7
	;; [unrolled: 1-line block ×3, first 2 shown]
	s_waitcnt vmcnt(0)
	v_mul_f32_e32 v1, v10, v3
	v_fma_f32 v8, v2, v10, v0
	v_fma_f32 v10, v2, v10, -v0
	v_fma_f32 v7, 0.5, v11, v1
	v_fma_f32 v0, v11, 0.5, -v1
	v_fma_f32 v8, -v9, v3, v8
	v_fmac_f32_e32 v7, v9, v2
	v_fma_f32 v0, -v9, v2, v0
	v_fma_f32 v1, -v9, v3, v10
                                        ; implicit-def: $vgpr2_vgpr3
.LBB0_19:
	s_andn2_saveexec_b64 s[4:5], s[4:5]
	s_cbranch_execz .LBB0_21
; %bb.20:
	v_mov_b32_e32 v8, 0
	ds_read_b32 v1, v8 offset:7004
	s_waitcnt lgkmcnt(1)
	v_add_f32_e32 v7, v2, v3
	v_sub_f32_e32 v0, v2, v3
	s_waitcnt lgkmcnt(0)
	v_xor_b32_e32 v1, 0x80000000, v1
	ds_write_b32 v8, v1 offset:7004
	v_mov_b32_e32 v1, 0
.LBB0_21:
	s_or_b64 exec, exec, s[4:5]
	v_mov_b32_e32 v27, 0
	s_waitcnt lgkmcnt(0)
	v_lshlrev_b64 v[2:3], 3, v[26:27]
	v_mov_b32_e32 v9, s7
	v_add_co_u32_e32 v2, vcc, s6, v2
	v_addc_co_u32_e32 v3, vcc, v9, v3, vcc
	global_load_dwordx2 v[2:3], v[2:3], off
	v_mov_b32_e32 v30, v27
	v_lshlrev_b64 v[9:10], 3, v[29:30]
	v_mov_b32_e32 v11, s7
	v_add_co_u32_e32 v9, vcc, s6, v9
	v_addc_co_u32_e32 v10, vcc, v11, v10, vcc
	global_load_dwordx2 v[9:10], v[9:10], off
	v_add_u32_e32 v26, 0x20d, v24
	v_lshlrev_b64 v[11:12], 3, v[26:27]
	v_mov_b32_e32 v13, s7
	v_add_co_u32_e32 v11, vcc, s6, v11
	v_addc_co_u32_e32 v12, vcc, v13, v12, vcc
	global_load_dwordx2 v[11:12], v[11:12], off
	v_mov_b32_e32 v29, v27
	v_lshlrev_b64 v[13:14], 3, v[28:29]
	v_mov_b32_e32 v15, s7
	v_add_co_u32_e32 v13, vcc, s6, v13
	ds_write2_b32 v38, v7, v8 offset1:1
	ds_write_b64 v6, v[0:1] offset:14000
	v_addc_co_u32_e32 v14, vcc, v15, v14, vcc
	ds_read_b64 v[0:1], v40
	ds_read_b64 v[7:8], v6 offset:12600
	global_load_dwordx2 v[13:14], v[13:14], off
	s_waitcnt lgkmcnt(0)
	v_add_f32_e32 v15, v0, v7
	v_add_f32_e32 v16, v1, v8
	v_sub_f32_e32 v0, v0, v7
	v_sub_f32_e32 v1, v1, v8
	v_mul_f32_e32 v7, 0.5, v16
	v_mul_f32_e32 v0, 0.5, v0
	v_mul_f32_e32 v1, 0.5, v1
	s_waitcnt vmcnt(3)
	v_mul_f32_e32 v8, v3, v0
	v_fma_f32 v16, v7, v3, v1
	v_fma_f32 v1, v7, v3, -v1
	v_fma_f32 v3, 0.5, v15, v8
	v_fma_f32 v16, -v2, v0, v16
	v_fma_f32 v8, v15, 0.5, -v8
	v_fma_f32 v0, -v2, v0, v1
	v_fmac_f32_e32 v3, v2, v7
	ds_write_b32 v40, v16 offset:4
	v_fma_f32 v1, -v2, v7, v8
	ds_write_b32 v6, v0 offset:12604
	ds_write_b32 v40, v3
	ds_write_b32 v6, v1 offset:12600
	ds_read_b64 v[0:1], v5
	ds_read_b64 v[2:3], v6 offset:11200
	s_waitcnt lgkmcnt(0)
	v_add_f32_e32 v7, v0, v2
	v_add_f32_e32 v8, v1, v3
	v_sub_f32_e32 v0, v0, v2
	v_sub_f32_e32 v1, v1, v3
	v_mul_f32_e32 v2, 0.5, v8
	v_mul_f32_e32 v0, 0.5, v0
	;; [unrolled: 1-line block ×3, first 2 shown]
	s_waitcnt vmcnt(2)
	v_mul_f32_e32 v3, v10, v0
	v_fma_f32 v8, v2, v10, v1
	v_fma_f32 v1, v2, v10, -v1
	v_fma_f32 v10, 0.5, v7, v3
	v_fma_f32 v8, -v9, v0, v8
	v_fma_f32 v3, v7, 0.5, -v3
	v_fma_f32 v0, -v9, v0, v1
	v_fmac_f32_e32 v10, v9, v2
	ds_write_b32 v5, v8 offset:4
	v_fma_f32 v1, -v9, v2, v3
	ds_write_b32 v6, v0 offset:11204
	ds_write_b32 v5, v10
	ds_write_b32 v6, v1 offset:11200
	ds_read_b64 v[0:1], v38 offset:4200
	ds_read_b64 v[2:3], v6 offset:9800
	v_add_u32_e32 v5, 0x1000, v38
	s_waitcnt lgkmcnt(0)
	v_add_f32_e32 v7, v0, v2
	v_sub_f32_e32 v0, v0, v2
	v_add_f32_e32 v8, v1, v3
	v_sub_f32_e32 v1, v1, v3
	v_mul_f32_e32 v0, 0.5, v0
	v_mul_f32_e32 v2, 0.5, v8
	;; [unrolled: 1-line block ×3, first 2 shown]
	s_waitcnt vmcnt(1)
	v_mul_f32_e32 v3, v12, v0
	v_fma_f32 v8, v2, v12, v1
	v_fma_f32 v9, 0.5, v7, v3
	v_fma_f32 v1, v2, v12, -v1
	v_fma_f32 v8, -v11, v0, v8
	v_fma_f32 v3, v7, 0.5, -v3
	v_fmac_f32_e32 v9, v11, v2
	v_fma_f32 v1, -v11, v0, v1
	v_fma_f32 v0, -v11, v2, v3
	ds_write2_b32 v5, v9, v8 offset0:26 offset1:27
	ds_write_b64 v6, v[0:1] offset:9800
	ds_read_b64 v[0:1], v4
	ds_read_b64 v[2:3], v6 offset:8400
	s_waitcnt lgkmcnt(0)
	v_add_f32_e32 v5, v0, v2
	v_add_f32_e32 v7, v1, v3
	v_sub_f32_e32 v0, v0, v2
	v_sub_f32_e32 v1, v1, v3
	v_mul_f32_e32 v2, 0.5, v7
	v_mul_f32_e32 v0, 0.5, v0
	;; [unrolled: 1-line block ×3, first 2 shown]
	s_waitcnt vmcnt(0)
	v_mul_f32_e32 v3, v14, v0
	v_fma_f32 v7, v2, v14, v1
	v_fma_f32 v1, v2, v14, -v1
	v_fma_f32 v8, 0.5, v5, v3
	v_fma_f32 v7, -v13, v0, v7
	v_fma_f32 v3, v5, 0.5, -v3
	v_fma_f32 v0, -v13, v0, v1
	v_fmac_f32_e32 v8, v13, v2
	ds_write_b32 v4, v7 offset:4
	v_fma_f32 v1, -v13, v2, v3
	ds_write_b32 v6, v0 offset:8404
	ds_write_b32 v4, v8
	ds_write_b32 v6, v1 offset:8400
	s_waitcnt lgkmcnt(0)
	s_barrier
	s_and_saveexec_b64 s[4:5], s[0:1]
	s_cbranch_execz .LBB0_24
; %bb.22:
	v_mul_lo_u32 v2, s3, v22
	v_mul_lo_u32 v3, s2, v23
	v_mad_u64_u32 v[0:1], s[0:1], s2, v22, 0
	v_mov_b32_e32 v6, s11
	v_lshl_add_u32 v8, v24, 3, 0
	v_add3_u32 v1, v1, v3, v2
	v_lshlrev_b64 v[0:1], 3, v[0:1]
	v_mov_b32_e32 v25, v27
	v_add_co_u32_e32 v0, vcc, s10, v0
	v_addc_co_u32_e32 v9, vcc, v6, v1, vcc
	v_lshlrev_b64 v[6:7], 3, v[20:21]
	ds_read2_b64 v[2:5], v8 offset1:175
	v_add_co_u32_e32 v1, vcc, v0, v6
	v_addc_co_u32_e32 v0, vcc, v9, v7, vcc
	v_lshlrev_b64 v[6:7], 3, v[24:25]
	v_add_u32_e32 v26, 0xaf, v24
	v_add_co_u32_e32 v6, vcc, v1, v6
	v_addc_co_u32_e32 v7, vcc, v0, v7, vcc
	s_waitcnt lgkmcnt(0)
	global_store_dwordx2 v[6:7], v[2:3], off
	v_lshlrev_b64 v[2:3], 3, v[26:27]
	v_add_u32_e32 v26, 0x15e, v24
	v_add_co_u32_e32 v2, vcc, v1, v2
	v_addc_co_u32_e32 v3, vcc, v0, v3, vcc
	global_store_dwordx2 v[2:3], v[4:5], off
	v_add_u32_e32 v2, 0xa00, v8
	ds_read2_b64 v[2:5], v2 offset0:30 offset1:205
	v_lshlrev_b64 v[6:7], 3, v[26:27]
	v_add_u32_e32 v26, 0x20d, v24
	v_add_co_u32_e32 v6, vcc, v1, v6
	v_addc_co_u32_e32 v7, vcc, v0, v7, vcc
	s_waitcnt lgkmcnt(0)
	global_store_dwordx2 v[6:7], v[2:3], off
	v_lshlrev_b64 v[2:3], 3, v[26:27]
	v_add_u32_e32 v26, 0x2bc, v24
	v_add_co_u32_e32 v2, vcc, v1, v2
	v_addc_co_u32_e32 v3, vcc, v0, v3, vcc
	global_store_dwordx2 v[2:3], v[4:5], off
	v_add_u32_e32 v2, 0x1400, v8
	ds_read2_b64 v[2:5], v2 offset0:60 offset1:235
	;; [unrolled: 13-line block ×4, first 2 shown]
	v_lshlrev_b64 v[6:7], 3, v[26:27]
	v_add_u32_e32 v26, 0x627, v24
	v_add_co_u32_e32 v6, vcc, v1, v6
	v_addc_co_u32_e32 v7, vcc, v0, v7, vcc
	s_waitcnt lgkmcnt(0)
	global_store_dwordx2 v[6:7], v[2:3], off
	v_lshlrev_b64 v[2:3], 3, v[26:27]
	s_movk_i32 s0, 0xae
	v_add_co_u32_e32 v2, vcc, v1, v2
	v_addc_co_u32_e32 v3, vcc, v0, v3, vcc
	v_cmp_eq_u32_e32 vcc, s0, v24
	global_store_dwordx2 v[2:3], v[4:5], off
	s_and_b64 exec, exec, vcc
	s_cbranch_execz .LBB0_24
; %bb.23:
	v_mov_b32_e32 v2, 0
	ds_read_b64 v[2:3], v2 offset:14000
	v_add_co_u32_e32 v4, vcc, 0x3000, v1
	v_addc_co_u32_e32 v5, vcc, 0, v0, vcc
	s_waitcnt lgkmcnt(0)
	global_store_dwordx2 v[4:5], v[2:3], off offset:1712
.LBB0_24:
	s_endpgm
	.section	.rodata,"a",@progbits
	.p2align	6, 0x0
	.amdhsa_kernel fft_rtc_fwd_len1750_factors_2_5_5_7_5_wgs_175_tpt_175_halfLds_sp_op_CI_CI_unitstride_sbrr_R2C_dirReg
		.amdhsa_group_segment_fixed_size 0
		.amdhsa_private_segment_fixed_size 0
		.amdhsa_kernarg_size 104
		.amdhsa_user_sgpr_count 6
		.amdhsa_user_sgpr_private_segment_buffer 1
		.amdhsa_user_sgpr_dispatch_ptr 0
		.amdhsa_user_sgpr_queue_ptr 0
		.amdhsa_user_sgpr_kernarg_segment_ptr 1
		.amdhsa_user_sgpr_dispatch_id 0
		.amdhsa_user_sgpr_flat_scratch_init 0
		.amdhsa_user_sgpr_private_segment_size 0
		.amdhsa_uses_dynamic_stack 0
		.amdhsa_system_sgpr_private_segment_wavefront_offset 0
		.amdhsa_system_sgpr_workgroup_id_x 1
		.amdhsa_system_sgpr_workgroup_id_y 0
		.amdhsa_system_sgpr_workgroup_id_z 0
		.amdhsa_system_sgpr_workgroup_info 0
		.amdhsa_system_vgpr_workitem_id 0
		.amdhsa_next_free_vgpr 60
		.amdhsa_next_free_sgpr 28
		.amdhsa_reserve_vcc 1
		.amdhsa_reserve_flat_scratch 0
		.amdhsa_float_round_mode_32 0
		.amdhsa_float_round_mode_16_64 0
		.amdhsa_float_denorm_mode_32 3
		.amdhsa_float_denorm_mode_16_64 3
		.amdhsa_dx10_clamp 1
		.amdhsa_ieee_mode 1
		.amdhsa_fp16_overflow 0
		.amdhsa_exception_fp_ieee_invalid_op 0
		.amdhsa_exception_fp_denorm_src 0
		.amdhsa_exception_fp_ieee_div_zero 0
		.amdhsa_exception_fp_ieee_overflow 0
		.amdhsa_exception_fp_ieee_underflow 0
		.amdhsa_exception_fp_ieee_inexact 0
		.amdhsa_exception_int_div_zero 0
	.end_amdhsa_kernel
	.text
.Lfunc_end0:
	.size	fft_rtc_fwd_len1750_factors_2_5_5_7_5_wgs_175_tpt_175_halfLds_sp_op_CI_CI_unitstride_sbrr_R2C_dirReg, .Lfunc_end0-fft_rtc_fwd_len1750_factors_2_5_5_7_5_wgs_175_tpt_175_halfLds_sp_op_CI_CI_unitstride_sbrr_R2C_dirReg
                                        ; -- End function
	.section	.AMDGPU.csdata,"",@progbits
; Kernel info:
; codeLenInByte = 8404
; NumSgprs: 32
; NumVgprs: 60
; ScratchSize: 0
; MemoryBound: 0
; FloatMode: 240
; IeeeMode: 1
; LDSByteSize: 0 bytes/workgroup (compile time only)
; SGPRBlocks: 3
; VGPRBlocks: 14
; NumSGPRsForWavesPerEU: 32
; NumVGPRsForWavesPerEU: 60
; Occupancy: 4
; WaveLimiterHint : 1
; COMPUTE_PGM_RSRC2:SCRATCH_EN: 0
; COMPUTE_PGM_RSRC2:USER_SGPR: 6
; COMPUTE_PGM_RSRC2:TRAP_HANDLER: 0
; COMPUTE_PGM_RSRC2:TGID_X_EN: 1
; COMPUTE_PGM_RSRC2:TGID_Y_EN: 0
; COMPUTE_PGM_RSRC2:TGID_Z_EN: 0
; COMPUTE_PGM_RSRC2:TIDIG_COMP_CNT: 0
	.type	__hip_cuid_15ddd882a379babf,@object ; @__hip_cuid_15ddd882a379babf
	.section	.bss,"aw",@nobits
	.globl	__hip_cuid_15ddd882a379babf
__hip_cuid_15ddd882a379babf:
	.byte	0                               ; 0x0
	.size	__hip_cuid_15ddd882a379babf, 1

	.ident	"AMD clang version 19.0.0git (https://github.com/RadeonOpenCompute/llvm-project roc-6.4.0 25133 c7fe45cf4b819c5991fe208aaa96edf142730f1d)"
	.section	".note.GNU-stack","",@progbits
	.addrsig
	.addrsig_sym __hip_cuid_15ddd882a379babf
	.amdgpu_metadata
---
amdhsa.kernels:
  - .args:
      - .actual_access:  read_only
        .address_space:  global
        .offset:         0
        .size:           8
        .value_kind:     global_buffer
      - .offset:         8
        .size:           8
        .value_kind:     by_value
      - .actual_access:  read_only
        .address_space:  global
        .offset:         16
        .size:           8
        .value_kind:     global_buffer
      - .actual_access:  read_only
        .address_space:  global
        .offset:         24
        .size:           8
        .value_kind:     global_buffer
      - .actual_access:  read_only
        .address_space:  global
        .offset:         32
        .size:           8
        .value_kind:     global_buffer
      - .offset:         40
        .size:           8
        .value_kind:     by_value
      - .actual_access:  read_only
        .address_space:  global
        .offset:         48
        .size:           8
        .value_kind:     global_buffer
      - .actual_access:  read_only
        .address_space:  global
        .offset:         56
        .size:           8
        .value_kind:     global_buffer
      - .offset:         64
        .size:           4
        .value_kind:     by_value
      - .actual_access:  read_only
        .address_space:  global
        .offset:         72
        .size:           8
        .value_kind:     global_buffer
      - .actual_access:  read_only
        .address_space:  global
        .offset:         80
        .size:           8
        .value_kind:     global_buffer
      - .actual_access:  read_only
        .address_space:  global
        .offset:         88
        .size:           8
        .value_kind:     global_buffer
      - .actual_access:  write_only
        .address_space:  global
        .offset:         96
        .size:           8
        .value_kind:     global_buffer
    .group_segment_fixed_size: 0
    .kernarg_segment_align: 8
    .kernarg_segment_size: 104
    .language:       OpenCL C
    .language_version:
      - 2
      - 0
    .max_flat_workgroup_size: 175
    .name:           fft_rtc_fwd_len1750_factors_2_5_5_7_5_wgs_175_tpt_175_halfLds_sp_op_CI_CI_unitstride_sbrr_R2C_dirReg
    .private_segment_fixed_size: 0
    .sgpr_count:     32
    .sgpr_spill_count: 0
    .symbol:         fft_rtc_fwd_len1750_factors_2_5_5_7_5_wgs_175_tpt_175_halfLds_sp_op_CI_CI_unitstride_sbrr_R2C_dirReg.kd
    .uniform_work_group_size: 1
    .uses_dynamic_stack: false
    .vgpr_count:     60
    .vgpr_spill_count: 0
    .wavefront_size: 64
amdhsa.target:   amdgcn-amd-amdhsa--gfx906
amdhsa.version:
  - 1
  - 2
...

	.end_amdgpu_metadata
